;; amdgpu-corpus repo=zjin-lcf/HeCBench kind=compiled arch=gfx906 opt=O3
	.amdgcn_target "amdgcn-amd-amdhsa--gfx906"
	.amdhsa_code_object_version 6
	.text
	.protected	_Z14ReluGrad_impl1PK6__halfS1_PS_i ; -- Begin function _Z14ReluGrad_impl1PK6__halfS1_PS_i
	.globl	_Z14ReluGrad_impl1PK6__halfS1_PS_i
	.p2align	8
	.type	_Z14ReluGrad_impl1PK6__halfS1_PS_i,@function
_Z14ReluGrad_impl1PK6__halfS1_PS_i:     ; @_Z14ReluGrad_impl1PK6__halfS1_PS_i
; %bb.0:
	s_load_dword s12, s[4:5], 0x18
	s_load_dword s7, s[4:5], 0x2c
	s_load_dwordx4 s[8:11], s[4:5], 0x0
	s_load_dwordx2 s[2:3], s[4:5], 0x10
	s_waitcnt lgkmcnt(0)
	s_ashr_i32 s13, s12, 1
	s_add_u32 s0, s4, 32
	s_addc_u32 s1, s5, 0
	s_and_b32 s14, s7, 0xffff
	s_mul_i32 s6, s6, s14
	v_add_u32_e32 v0, s6, v0
	v_cmp_gt_i32_e32 vcc, s13, v0
	s_and_saveexec_b64 s[4:5], vcc
	s_cbranch_execz .LBB0_4
; %bb.1:
	s_load_dword s0, s[0:1], 0x0
	v_ashrrev_i32_e32 v1, 31, v0
	v_lshlrev_b64 v[1:2], 2, v[0:1]
	s_mov_b64 s[6:7], 0
	v_mov_b32_e32 v3, s9
	s_waitcnt lgkmcnt(0)
	s_mul_i32 s14, s0, s14
	s_ashr_i32 s15, s14, 31
	s_lshl_b64 s[16:17], s[14:15], 2
	v_mov_b32_e32 v4, s11
	v_mov_b32_e32 v5, s3
	;; [unrolled: 1-line block ×5, first 2 shown]
.LBB0_2:                                ; =>This Inner Loop Header: Depth=1
	v_add_co_u32_e64 v10, s[0:1], s10, v1
	v_addc_co_u32_e64 v11, s[0:1], v4, v2, s[0:1]
	global_load_dword v11, v[10:11], off
	v_add_co_u32_e32 v9, vcc, s8, v1
	v_addc_co_u32_e32 v10, vcc, v3, v2, vcc
	global_load_dword v12, v[9:10], off
	v_add_co_u32_e32 v9, vcc, s2, v1
	v_addc_co_u32_e32 v10, vcc, v5, v2, vcc
	v_add_co_u32_e32 v1, vcc, s16, v1
	v_add_u32_e32 v0, s14, v0
	v_addc_co_u32_e32 v2, vcc, v2, v7, vcc
	v_cmp_le_i32_e32 vcc, s13, v0
	s_or_b64 s[6:7], vcc, s[6:7]
	s_waitcnt vmcnt(1)
	v_cmp_lt_f16_e32 vcc, 0, v11
	v_cndmask_b32_e32 v13, 0, v6, vcc
	v_cmp_gt_f16_sdwa vcc, v11, v8 src0_sel:WORD_1 src1_sel:DWORD
	v_cndmask_b32_e32 v11, 0, v6, vcc
	v_pack_b32_f16 v11, v13, v11
	s_waitcnt vmcnt(0)
	v_pk_mul_f16 v11, v12, v11
	global_store_dword v[9:10], v11, off
	s_andn2_b64 exec, exec, s[6:7]
	s_cbranch_execnz .LBB0_2
; %bb.3:
	s_or_b64 exec, exec, s[6:7]
.LBB0_4:
	s_or_b64 exec, exec, s[4:5]
	s_bitcmp1_b32 s12, 0
	s_cselect_b64 s[0:1], -1, 0
	v_cmp_eq_u32_e32 vcc, s13, v0
	s_and_b64 s[0:1], s[0:1], vcc
	s_and_saveexec_b64 s[4:5], s[0:1]
	s_cbranch_execz .LBB0_6
; %bb.5:
	s_ashr_i32 s13, s12, 31
	s_lshl_b64 s[0:1], s[12:13], 1
	s_add_u32 s4, s8, s0
	s_addc_u32 s5, s9, s1
	s_add_u32 s6, s10, s0
	v_mov_b32_e32 v0, 0
	s_addc_u32 s7, s11, s1
	global_load_ushort v1, v0, s[6:7] offset:-2
	global_load_ushort v2, v0, s[4:5] offset:-2
	s_add_u32 s0, s2, s0
	s_addc_u32 s1, s3, s1
	s_waitcnt vmcnt(1)
	v_cmp_lt_f16_e32 vcc, 0, v1
	s_waitcnt vmcnt(0)
	v_cndmask_b32_e32 v1, 0, v2, vcc
	global_store_short v0, v1, s[0:1] offset:-2
.LBB0_6:
	s_endpgm
	.section	.rodata,"a",@progbits
	.p2align	6, 0x0
	.amdhsa_kernel _Z14ReluGrad_impl1PK6__halfS1_PS_i
		.amdhsa_group_segment_fixed_size 0
		.amdhsa_private_segment_fixed_size 0
		.amdhsa_kernarg_size 288
		.amdhsa_user_sgpr_count 6
		.amdhsa_user_sgpr_private_segment_buffer 1
		.amdhsa_user_sgpr_dispatch_ptr 0
		.amdhsa_user_sgpr_queue_ptr 0
		.amdhsa_user_sgpr_kernarg_segment_ptr 1
		.amdhsa_user_sgpr_dispatch_id 0
		.amdhsa_user_sgpr_flat_scratch_init 0
		.amdhsa_user_sgpr_private_segment_size 0
		.amdhsa_uses_dynamic_stack 0
		.amdhsa_system_sgpr_private_segment_wavefront_offset 0
		.amdhsa_system_sgpr_workgroup_id_x 1
		.amdhsa_system_sgpr_workgroup_id_y 0
		.amdhsa_system_sgpr_workgroup_id_z 0
		.amdhsa_system_sgpr_workgroup_info 0
		.amdhsa_system_vgpr_workitem_id 0
		.amdhsa_next_free_vgpr 14
		.amdhsa_next_free_sgpr 18
		.amdhsa_reserve_vcc 1
		.amdhsa_reserve_flat_scratch 0
		.amdhsa_float_round_mode_32 0
		.amdhsa_float_round_mode_16_64 0
		.amdhsa_float_denorm_mode_32 3
		.amdhsa_float_denorm_mode_16_64 3
		.amdhsa_dx10_clamp 1
		.amdhsa_ieee_mode 1
		.amdhsa_fp16_overflow 0
		.amdhsa_exception_fp_ieee_invalid_op 0
		.amdhsa_exception_fp_denorm_src 0
		.amdhsa_exception_fp_ieee_div_zero 0
		.amdhsa_exception_fp_ieee_overflow 0
		.amdhsa_exception_fp_ieee_underflow 0
		.amdhsa_exception_fp_ieee_inexact 0
		.amdhsa_exception_int_div_zero 0
	.end_amdhsa_kernel
	.text
.Lfunc_end0:
	.size	_Z14ReluGrad_impl1PK6__halfS1_PS_i, .Lfunc_end0-_Z14ReluGrad_impl1PK6__halfS1_PS_i
                                        ; -- End function
	.set _Z14ReluGrad_impl1PK6__halfS1_PS_i.num_vgpr, 14
	.set _Z14ReluGrad_impl1PK6__halfS1_PS_i.num_agpr, 0
	.set _Z14ReluGrad_impl1PK6__halfS1_PS_i.numbered_sgpr, 18
	.set _Z14ReluGrad_impl1PK6__halfS1_PS_i.num_named_barrier, 0
	.set _Z14ReluGrad_impl1PK6__halfS1_PS_i.private_seg_size, 0
	.set _Z14ReluGrad_impl1PK6__halfS1_PS_i.uses_vcc, 1
	.set _Z14ReluGrad_impl1PK6__halfS1_PS_i.uses_flat_scratch, 0
	.set _Z14ReluGrad_impl1PK6__halfS1_PS_i.has_dyn_sized_stack, 0
	.set _Z14ReluGrad_impl1PK6__halfS1_PS_i.has_recursion, 0
	.set _Z14ReluGrad_impl1PK6__halfS1_PS_i.has_indirect_call, 0
	.section	.AMDGPU.csdata,"",@progbits
; Kernel info:
; codeLenInByte = 384
; TotalNumSgprs: 22
; NumVgprs: 14
; ScratchSize: 0
; MemoryBound: 0
; FloatMode: 240
; IeeeMode: 1
; LDSByteSize: 0 bytes/workgroup (compile time only)
; SGPRBlocks: 2
; VGPRBlocks: 3
; NumSGPRsForWavesPerEU: 22
; NumVGPRsForWavesPerEU: 14
; Occupancy: 10
; WaveLimiterHint : 0
; COMPUTE_PGM_RSRC2:SCRATCH_EN: 0
; COMPUTE_PGM_RSRC2:USER_SGPR: 6
; COMPUTE_PGM_RSRC2:TRAP_HANDLER: 0
; COMPUTE_PGM_RSRC2:TGID_X_EN: 1
; COMPUTE_PGM_RSRC2:TGID_Y_EN: 0
; COMPUTE_PGM_RSRC2:TGID_Z_EN: 0
; COMPUTE_PGM_RSRC2:TIDIG_COMP_CNT: 0
	.text
	.protected	_Z14ReluGrad_impl2PK6__halfS1_PS_i ; -- Begin function _Z14ReluGrad_impl2PK6__halfS1_PS_i
	.globl	_Z14ReluGrad_impl2PK6__halfS1_PS_i
	.p2align	8
	.type	_Z14ReluGrad_impl2PK6__halfS1_PS_i,@function
_Z14ReluGrad_impl2PK6__halfS1_PS_i:     ; @_Z14ReluGrad_impl2PK6__halfS1_PS_i
; %bb.0:
	s_load_dword s12, s[4:5], 0x18
	s_load_dwordx4 s[8:11], s[4:5], 0x0
	s_load_dwordx2 s[2:3], s[4:5], 0x10
	s_load_dword s0, s[4:5], 0x2c
	s_waitcnt lgkmcnt(0)
	s_ashr_i32 s1, s12, 31
	s_lshr_b32 s1, s1, 29
	s_add_i32 s1, s12, s1
	s_and_b32 s0, s0, 0xffff
	s_mul_i32 s6, s6, s0
	s_ashr_i32 s7, s1, 3
	v_add_u32_e32 v0, s6, v0
	v_cmp_gt_i32_e32 vcc, s7, v0
	s_and_saveexec_b64 s[4:5], vcc
	s_cbranch_execz .LBB1_2
; %bb.1:
	v_ashrrev_i32_e32 v1, 31, v0
	v_lshlrev_b64 v[9:10], 4, v[0:1]
	v_mov_b32_e32 v2, s11
	v_add_co_u32_e32 v1, vcc, s10, v9
	v_addc_co_u32_e32 v2, vcc, v2, v10, vcc
	global_load_dwordx4 v[1:4], v[1:2], off
	v_mov_b32_e32 v6, s9
	v_add_co_u32_e32 v5, vcc, s8, v9
	v_addc_co_u32_e32 v6, vcc, v6, v10, vcc
	global_load_dwordx4 v[5:8], v[5:6], off
	v_mov_b32_e32 v11, 0
	v_mov_b32_e32 v12, 0x3c00
	;; [unrolled: 1-line block ×3, first 2 shown]
	s_waitcnt vmcnt(1)
	v_cmp_lt_f16_e32 vcc, 0, v1
	v_cndmask_b32_e32 v14, 0, v12, vcc
	v_cmp_gt_f16_sdwa vcc, v1, v11 src0_sel:WORD_1 src1_sel:DWORD
	v_cndmask_b32_e32 v1, 0, v12, vcc
	v_cmp_lt_f16_e32 vcc, 0, v2
	v_cndmask_b32_e32 v15, 0, v12, vcc
	v_cmp_gt_f16_sdwa vcc, v2, v11 src0_sel:WORD_1 src1_sel:DWORD
	v_cndmask_b32_e32 v2, 0, v12, vcc
	v_cmp_lt_f16_e32 vcc, 0, v3
	v_cmp_gt_f16_sdwa s[0:1], v3, v11 src0_sel:WORD_1 src1_sel:DWORD
	v_cndmask_b32_e32 v16, 0, v12, vcc
	v_cmp_gt_f16_sdwa vcc, v4, v11 src0_sel:WORD_1 src1_sel:DWORD
	v_cndmask_b32_e64 v3, 0, v12, s[0:1]
	v_cmp_lt_f16_e64 s[0:1], 0, v4
	v_cndmask_b32_e64 v4, 0, v12, s[0:1]
	v_cndmask_b32_e32 v11, 0, v12, vcc
	v_pack_b32_f16 v1, v14, v1
	v_pack_b32_f16 v2, v15, v2
	;; [unrolled: 1-line block ×4, first 2 shown]
	s_waitcnt vmcnt(0)
	v_pk_mul_f16 v1, v5, v1
	v_add_co_u32_e32 v5, vcc, s2, v9
	v_pk_mul_f16 v2, v6, v2
	v_pk_mul_f16 v3, v7, v3
	;; [unrolled: 1-line block ×3, first 2 shown]
	v_addc_co_u32_e32 v6, vcc, v13, v10, vcc
	global_store_dwordx4 v[5:6], v[1:4], off
.LBB1_2:
	s_or_b64 exec, exec, s[4:5]
	s_lshl_b32 s0, s7, 3
	s_sub_i32 s0, s12, s0
	v_cmp_gt_i32_e32 vcc, s0, v0
	s_and_saveexec_b64 s[0:1], vcc
	s_cbranch_execz .LBB1_4
; %bb.3:
	v_lshl_add_u32 v0, s7, 3, v0
	v_ashrrev_i32_e32 v1, 31, v0
	v_lshlrev_b64 v[0:1], 1, v[0:1]
	v_mov_b32_e32 v3, s9
	v_add_co_u32_e32 v2, vcc, s8, v0
	v_addc_co_u32_e32 v3, vcc, v3, v1, vcc
	v_mov_b32_e32 v5, s11
	v_add_co_u32_e32 v4, vcc, s10, v0
	v_addc_co_u32_e32 v5, vcc, v5, v1, vcc
	global_load_ushort v6, v[4:5], off
	global_load_ushort v7, v[2:3], off
	v_mov_b32_e32 v2, s3
	s_waitcnt vmcnt(1)
	v_cmp_lt_f16_e32 vcc, 0, v6
	s_waitcnt vmcnt(0)
	v_cndmask_b32_e32 v3, 0, v7, vcc
	v_add_co_u32_e32 v0, vcc, s2, v0
	v_addc_co_u32_e32 v1, vcc, v2, v1, vcc
	global_store_short v[0:1], v3, off
.LBB1_4:
	s_endpgm
	.section	.rodata,"a",@progbits
	.p2align	6, 0x0
	.amdhsa_kernel _Z14ReluGrad_impl2PK6__halfS1_PS_i
		.amdhsa_group_segment_fixed_size 0
		.amdhsa_private_segment_fixed_size 0
		.amdhsa_kernarg_size 288
		.amdhsa_user_sgpr_count 6
		.amdhsa_user_sgpr_private_segment_buffer 1
		.amdhsa_user_sgpr_dispatch_ptr 0
		.amdhsa_user_sgpr_queue_ptr 0
		.amdhsa_user_sgpr_kernarg_segment_ptr 1
		.amdhsa_user_sgpr_dispatch_id 0
		.amdhsa_user_sgpr_flat_scratch_init 0
		.amdhsa_user_sgpr_private_segment_size 0
		.amdhsa_uses_dynamic_stack 0
		.amdhsa_system_sgpr_private_segment_wavefront_offset 0
		.amdhsa_system_sgpr_workgroup_id_x 1
		.amdhsa_system_sgpr_workgroup_id_y 0
		.amdhsa_system_sgpr_workgroup_id_z 0
		.amdhsa_system_sgpr_workgroup_info 0
		.amdhsa_system_vgpr_workitem_id 0
		.amdhsa_next_free_vgpr 17
		.amdhsa_next_free_sgpr 13
		.amdhsa_reserve_vcc 1
		.amdhsa_reserve_flat_scratch 0
		.amdhsa_float_round_mode_32 0
		.amdhsa_float_round_mode_16_64 0
		.amdhsa_float_denorm_mode_32 3
		.amdhsa_float_denorm_mode_16_64 3
		.amdhsa_dx10_clamp 1
		.amdhsa_ieee_mode 1
		.amdhsa_fp16_overflow 0
		.amdhsa_exception_fp_ieee_invalid_op 0
		.amdhsa_exception_fp_denorm_src 0
		.amdhsa_exception_fp_ieee_div_zero 0
		.amdhsa_exception_fp_ieee_overflow 0
		.amdhsa_exception_fp_ieee_underflow 0
		.amdhsa_exception_fp_ieee_inexact 0
		.amdhsa_exception_int_div_zero 0
	.end_amdhsa_kernel
	.text
.Lfunc_end1:
	.size	_Z14ReluGrad_impl2PK6__halfS1_PS_i, .Lfunc_end1-_Z14ReluGrad_impl2PK6__halfS1_PS_i
                                        ; -- End function
	.set _Z14ReluGrad_impl2PK6__halfS1_PS_i.num_vgpr, 17
	.set _Z14ReluGrad_impl2PK6__halfS1_PS_i.num_agpr, 0
	.set _Z14ReluGrad_impl2PK6__halfS1_PS_i.numbered_sgpr, 13
	.set _Z14ReluGrad_impl2PK6__halfS1_PS_i.num_named_barrier, 0
	.set _Z14ReluGrad_impl2PK6__halfS1_PS_i.private_seg_size, 0
	.set _Z14ReluGrad_impl2PK6__halfS1_PS_i.uses_vcc, 1
	.set _Z14ReluGrad_impl2PK6__halfS1_PS_i.uses_flat_scratch, 0
	.set _Z14ReluGrad_impl2PK6__halfS1_PS_i.has_dyn_sized_stack, 0
	.set _Z14ReluGrad_impl2PK6__halfS1_PS_i.has_recursion, 0
	.set _Z14ReluGrad_impl2PK6__halfS1_PS_i.has_indirect_call, 0
	.section	.AMDGPU.csdata,"",@progbits
; Kernel info:
; codeLenInByte = 452
; TotalNumSgprs: 17
; NumVgprs: 17
; ScratchSize: 0
; MemoryBound: 0
; FloatMode: 240
; IeeeMode: 1
; LDSByteSize: 0 bytes/workgroup (compile time only)
; SGPRBlocks: 2
; VGPRBlocks: 4
; NumSGPRsForWavesPerEU: 17
; NumVGPRsForWavesPerEU: 17
; Occupancy: 10
; WaveLimiterHint : 0
; COMPUTE_PGM_RSRC2:SCRATCH_EN: 0
; COMPUTE_PGM_RSRC2:USER_SGPR: 6
; COMPUTE_PGM_RSRC2:TRAP_HANDLER: 0
; COMPUTE_PGM_RSRC2:TGID_X_EN: 1
; COMPUTE_PGM_RSRC2:TGID_Y_EN: 0
; COMPUTE_PGM_RSRC2:TGID_Z_EN: 0
; COMPUTE_PGM_RSRC2:TIDIG_COMP_CNT: 0
	.text
	.protected	_Z10Relu_impl1iPKiPi    ; -- Begin function _Z10Relu_impl1iPKiPi
	.globl	_Z10Relu_impl1iPKiPi
	.p2align	8
	.type	_Z10Relu_impl1iPKiPi,@function
_Z10Relu_impl1iPKiPi:                   ; @_Z10Relu_impl1iPKiPi
; %bb.0:
	s_load_dword s0, s[4:5], 0x24
	s_load_dword s1, s[4:5], 0x0
	s_waitcnt lgkmcnt(0)
	s_and_b32 s0, s0, 0xffff
	s_mul_i32 s6, s6, s0
	v_add_u32_e32 v0, s6, v0
	v_cmp_gt_i32_e32 vcc, s1, v0
	s_and_saveexec_b64 s[0:1], vcc
	s_cbranch_execz .LBB2_2
; %bb.1:
	s_load_dwordx4 s[0:3], s[4:5], 0x8
	v_ashrrev_i32_e32 v1, 31, v0
	v_lshlrev_b64 v[0:1], 2, v[0:1]
	s_waitcnt lgkmcnt(0)
	v_mov_b32_e32 v3, s1
	v_add_co_u32_e32 v2, vcc, s0, v0
	v_addc_co_u32_e32 v3, vcc, v3, v1, vcc
	global_load_dword v2, v[2:3], off
	v_add_co_u32_e32 v0, vcc, s2, v0
	s_waitcnt vmcnt(0)
	v_bfe_i32 v3, v2, 0, 8
	v_bfe_i32 v6, v2, 8, 8
	;; [unrolled: 1-line block ×3, first 2 shown]
	v_ashrrev_i32_e32 v4, 24, v2
	v_cvt_f64_i32_e32 v[2:3], v3
	v_cvt_f64_i32_e32 v[4:5], v4
	;; [unrolled: 1-line block ×4, first 2 shown]
	v_max_f64 v[2:3], v[2:3], 0
	v_max_f64 v[4:5], v[4:5], 0
	;; [unrolled: 1-line block ×4, first 2 shown]
	v_cvt_u32_f64_e32 v2, v[2:3]
	v_cvt_u32_f64_e32 v3, v[4:5]
	;; [unrolled: 1-line block ×4, first 2 shown]
	v_mov_b32_e32 v6, s3
	v_lshlrev_b32_e32 v3, 24, v3
	v_lshlrev_b32_e32 v4, 8, v4
	v_lshl_or_b32 v2, v5, 16, v2
	v_or3_b32 v2, v2, v3, v4
	v_addc_co_u32_e32 v1, vcc, v6, v1, vcc
	global_store_dword v[0:1], v2, off
.LBB2_2:
	s_endpgm
	.section	.rodata,"a",@progbits
	.p2align	6, 0x0
	.amdhsa_kernel _Z10Relu_impl1iPKiPi
		.amdhsa_group_segment_fixed_size 0
		.amdhsa_private_segment_fixed_size 0
		.amdhsa_kernarg_size 280
		.amdhsa_user_sgpr_count 6
		.amdhsa_user_sgpr_private_segment_buffer 1
		.amdhsa_user_sgpr_dispatch_ptr 0
		.amdhsa_user_sgpr_queue_ptr 0
		.amdhsa_user_sgpr_kernarg_segment_ptr 1
		.amdhsa_user_sgpr_dispatch_id 0
		.amdhsa_user_sgpr_flat_scratch_init 0
		.amdhsa_user_sgpr_private_segment_size 0
		.amdhsa_uses_dynamic_stack 0
		.amdhsa_system_sgpr_private_segment_wavefront_offset 0
		.amdhsa_system_sgpr_workgroup_id_x 1
		.amdhsa_system_sgpr_workgroup_id_y 0
		.amdhsa_system_sgpr_workgroup_id_z 0
		.amdhsa_system_sgpr_workgroup_info 0
		.amdhsa_system_vgpr_workitem_id 0
		.amdhsa_next_free_vgpr 10
		.amdhsa_next_free_sgpr 7
		.amdhsa_reserve_vcc 1
		.amdhsa_reserve_flat_scratch 0
		.amdhsa_float_round_mode_32 0
		.amdhsa_float_round_mode_16_64 0
		.amdhsa_float_denorm_mode_32 3
		.amdhsa_float_denorm_mode_16_64 3
		.amdhsa_dx10_clamp 1
		.amdhsa_ieee_mode 1
		.amdhsa_fp16_overflow 0
		.amdhsa_exception_fp_ieee_invalid_op 0
		.amdhsa_exception_fp_denorm_src 0
		.amdhsa_exception_fp_ieee_div_zero 0
		.amdhsa_exception_fp_ieee_overflow 0
		.amdhsa_exception_fp_ieee_underflow 0
		.amdhsa_exception_fp_ieee_inexact 0
		.amdhsa_exception_int_div_zero 0
	.end_amdhsa_kernel
	.text
.Lfunc_end2:
	.size	_Z10Relu_impl1iPKiPi, .Lfunc_end2-_Z10Relu_impl1iPKiPi
                                        ; -- End function
	.set _Z10Relu_impl1iPKiPi.num_vgpr, 10
	.set _Z10Relu_impl1iPKiPi.num_agpr, 0
	.set _Z10Relu_impl1iPKiPi.numbered_sgpr, 7
	.set _Z10Relu_impl1iPKiPi.num_named_barrier, 0
	.set _Z10Relu_impl1iPKiPi.private_seg_size, 0
	.set _Z10Relu_impl1iPKiPi.uses_vcc, 1
	.set _Z10Relu_impl1iPKiPi.uses_flat_scratch, 0
	.set _Z10Relu_impl1iPKiPi.has_dyn_sized_stack, 0
	.set _Z10Relu_impl1iPKiPi.has_recursion, 0
	.set _Z10Relu_impl1iPKiPi.has_indirect_call, 0
	.section	.AMDGPU.csdata,"",@progbits
; Kernel info:
; codeLenInByte = 236
; TotalNumSgprs: 11
; NumVgprs: 10
; ScratchSize: 0
; MemoryBound: 0
; FloatMode: 240
; IeeeMode: 1
; LDSByteSize: 0 bytes/workgroup (compile time only)
; SGPRBlocks: 1
; VGPRBlocks: 2
; NumSGPRsForWavesPerEU: 11
; NumVGPRsForWavesPerEU: 10
; Occupancy: 10
; WaveLimiterHint : 0
; COMPUTE_PGM_RSRC2:SCRATCH_EN: 0
; COMPUTE_PGM_RSRC2:USER_SGPR: 6
; COMPUTE_PGM_RSRC2:TRAP_HANDLER: 0
; COMPUTE_PGM_RSRC2:TGID_X_EN: 1
; COMPUTE_PGM_RSRC2:TGID_Y_EN: 0
; COMPUTE_PGM_RSRC2:TGID_Z_EN: 0
; COMPUTE_PGM_RSRC2:TIDIG_COMP_CNT: 0
	.section	.AMDGPU.gpr_maximums,"",@progbits
	.set amdgpu.max_num_vgpr, 0
	.set amdgpu.max_num_agpr, 0
	.set amdgpu.max_num_sgpr, 0
	.section	.AMDGPU.csdata,"",@progbits
	.type	__hip_cuid_7ac7667282a89e24,@object ; @__hip_cuid_7ac7667282a89e24
	.section	.bss,"aw",@nobits
	.globl	__hip_cuid_7ac7667282a89e24
__hip_cuid_7ac7667282a89e24:
	.byte	0                               ; 0x0
	.size	__hip_cuid_7ac7667282a89e24, 1

	.ident	"AMD clang version 22.0.0git (https://github.com/RadeonOpenCompute/llvm-project roc-7.2.4 26084 f58b06dce1f9c15707c5f808fd002e18c2accf7e)"
	.section	".note.GNU-stack","",@progbits
	.addrsig
	.addrsig_sym __hip_cuid_7ac7667282a89e24
	.amdgpu_metadata
---
amdhsa.kernels:
  - .args:
      - .actual_access:  read_only
        .address_space:  global
        .offset:         0
        .size:           8
        .value_kind:     global_buffer
      - .actual_access:  read_only
        .address_space:  global
        .offset:         8
        .size:           8
        .value_kind:     global_buffer
      - .actual_access:  write_only
        .address_space:  global
        .offset:         16
        .size:           8
        .value_kind:     global_buffer
      - .offset:         24
        .size:           4
        .value_kind:     by_value
      - .offset:         32
        .size:           4
        .value_kind:     hidden_block_count_x
      - .offset:         36
        .size:           4
        .value_kind:     hidden_block_count_y
      - .offset:         40
        .size:           4
        .value_kind:     hidden_block_count_z
      - .offset:         44
        .size:           2
        .value_kind:     hidden_group_size_x
      - .offset:         46
        .size:           2
        .value_kind:     hidden_group_size_y
      - .offset:         48
        .size:           2
        .value_kind:     hidden_group_size_z
      - .offset:         50
        .size:           2
        .value_kind:     hidden_remainder_x
      - .offset:         52
        .size:           2
        .value_kind:     hidden_remainder_y
      - .offset:         54
        .size:           2
        .value_kind:     hidden_remainder_z
      - .offset:         72
        .size:           8
        .value_kind:     hidden_global_offset_x
      - .offset:         80
        .size:           8
        .value_kind:     hidden_global_offset_y
      - .offset:         88
        .size:           8
        .value_kind:     hidden_global_offset_z
      - .offset:         96
        .size:           2
        .value_kind:     hidden_grid_dims
    .group_segment_fixed_size: 0
    .kernarg_segment_align: 8
    .kernarg_segment_size: 288
    .language:       OpenCL C
    .language_version:
      - 2
      - 0
    .max_flat_workgroup_size: 1024
    .name:           _Z14ReluGrad_impl1PK6__halfS1_PS_i
    .private_segment_fixed_size: 0
    .sgpr_count:     22
    .sgpr_spill_count: 0
    .symbol:         _Z14ReluGrad_impl1PK6__halfS1_PS_i.kd
    .uniform_work_group_size: 1
    .uses_dynamic_stack: false
    .vgpr_count:     14
    .vgpr_spill_count: 0
    .wavefront_size: 64
  - .args:
      - .actual_access:  read_only
        .address_space:  global
        .offset:         0
        .size:           8
        .value_kind:     global_buffer
      - .actual_access:  read_only
        .address_space:  global
        .offset:         8
        .size:           8
        .value_kind:     global_buffer
      - .actual_access:  write_only
        .address_space:  global
        .offset:         16
        .size:           8
        .value_kind:     global_buffer
      - .offset:         24
        .size:           4
        .value_kind:     by_value
      - .offset:         32
        .size:           4
        .value_kind:     hidden_block_count_x
      - .offset:         36
        .size:           4
        .value_kind:     hidden_block_count_y
      - .offset:         40
        .size:           4
        .value_kind:     hidden_block_count_z
      - .offset:         44
        .size:           2
        .value_kind:     hidden_group_size_x
      - .offset:         46
        .size:           2
        .value_kind:     hidden_group_size_y
      - .offset:         48
        .size:           2
        .value_kind:     hidden_group_size_z
      - .offset:         50
        .size:           2
        .value_kind:     hidden_remainder_x
      - .offset:         52
        .size:           2
        .value_kind:     hidden_remainder_y
      - .offset:         54
        .size:           2
        .value_kind:     hidden_remainder_z
      - .offset:         72
        .size:           8
        .value_kind:     hidden_global_offset_x
      - .offset:         80
        .size:           8
        .value_kind:     hidden_global_offset_y
      - .offset:         88
        .size:           8
        .value_kind:     hidden_global_offset_z
      - .offset:         96
        .size:           2
        .value_kind:     hidden_grid_dims
    .group_segment_fixed_size: 0
    .kernarg_segment_align: 8
    .kernarg_segment_size: 288
    .language:       OpenCL C
    .language_version:
      - 2
      - 0
    .max_flat_workgroup_size: 1024
    .name:           _Z14ReluGrad_impl2PK6__halfS1_PS_i
    .private_segment_fixed_size: 0
    .sgpr_count:     17
    .sgpr_spill_count: 0
    .symbol:         _Z14ReluGrad_impl2PK6__halfS1_PS_i.kd
    .uniform_work_group_size: 1
    .uses_dynamic_stack: false
    .vgpr_count:     17
    .vgpr_spill_count: 0
    .wavefront_size: 64
  - .args:
      - .offset:         0
        .size:           4
        .value_kind:     by_value
      - .address_space:  global
        .offset:         8
        .size:           8
        .value_kind:     global_buffer
      - .address_space:  global
        .offset:         16
        .size:           8
        .value_kind:     global_buffer
      - .offset:         24
        .size:           4
        .value_kind:     hidden_block_count_x
      - .offset:         28
        .size:           4
        .value_kind:     hidden_block_count_y
      - .offset:         32
        .size:           4
        .value_kind:     hidden_block_count_z
      - .offset:         36
        .size:           2
        .value_kind:     hidden_group_size_x
      - .offset:         38
        .size:           2
        .value_kind:     hidden_group_size_y
      - .offset:         40
        .size:           2
        .value_kind:     hidden_group_size_z
      - .offset:         42
        .size:           2
        .value_kind:     hidden_remainder_x
      - .offset:         44
        .size:           2
        .value_kind:     hidden_remainder_y
      - .offset:         46
        .size:           2
        .value_kind:     hidden_remainder_z
      - .offset:         64
        .size:           8
        .value_kind:     hidden_global_offset_x
      - .offset:         72
        .size:           8
        .value_kind:     hidden_global_offset_y
      - .offset:         80
        .size:           8
        .value_kind:     hidden_global_offset_z
      - .offset:         88
        .size:           2
        .value_kind:     hidden_grid_dims
    .group_segment_fixed_size: 0
    .kernarg_segment_align: 8
    .kernarg_segment_size: 280
    .language:       OpenCL C
    .language_version:
      - 2
      - 0
    .max_flat_workgroup_size: 1024
    .name:           _Z10Relu_impl1iPKiPi
    .private_segment_fixed_size: 0
    .sgpr_count:     11
    .sgpr_spill_count: 0
    .symbol:         _Z10Relu_impl1iPKiPi.kd
    .uniform_work_group_size: 1
    .uses_dynamic_stack: false
    .vgpr_count:     10
    .vgpr_spill_count: 0
    .wavefront_size: 64
amdhsa.target:   amdgcn-amd-amdhsa--gfx906
amdhsa.version:
  - 1
  - 2
...

	.end_amdgpu_metadata
